;; amdgpu-corpus repo=ROCm/rocFFT kind=compiled arch=gfx1030 opt=O3
	.text
	.amdgcn_target "amdgcn-amd-amdhsa--gfx1030"
	.amdhsa_code_object_version 6
	.protected	fft_rtc_fwd_len55_factors_5_11_wgs_253_tpt_11_dp_op_CI_CI_unitstride_sbrr_dirReg ; -- Begin function fft_rtc_fwd_len55_factors_5_11_wgs_253_tpt_11_dp_op_CI_CI_unitstride_sbrr_dirReg
	.globl	fft_rtc_fwd_len55_factors_5_11_wgs_253_tpt_11_dp_op_CI_CI_unitstride_sbrr_dirReg
	.p2align	8
	.type	fft_rtc_fwd_len55_factors_5_11_wgs_253_tpt_11_dp_op_CI_CI_unitstride_sbrr_dirReg,@function
fft_rtc_fwd_len55_factors_5_11_wgs_253_tpt_11_dp_op_CI_CI_unitstride_sbrr_dirReg: ; @fft_rtc_fwd_len55_factors_5_11_wgs_253_tpt_11_dp_op_CI_CI_unitstride_sbrr_dirReg
; %bb.0:
	s_load_dwordx4 s[12:15], s[4:5], 0x0
	v_mul_u32_u24_e32 v1, 0x1746, v0
	s_clause 0x1
	s_load_dwordx4 s[8:11], s[4:5], 0x58
	s_load_dwordx4 s[16:19], s[4:5], 0x18
	v_mov_b32_e32 v4, 0
	v_mov_b32_e32 v5, 0
	v_lshrrev_b32_e32 v2, 16, v1
	v_mov_b32_e32 v1, 0
	v_mov_b32_e32 v85, v5
	;; [unrolled: 1-line block ×3, first 2 shown]
	v_mad_u64_u32 v[20:21], null, s6, 23, v[2:3]
	v_mov_b32_e32 v21, v1
	v_mov_b32_e32 v88, v21
	;; [unrolled: 1-line block ×3, first 2 shown]
	s_waitcnt lgkmcnt(0)
	v_cmp_lt_u64_e64 s0, s[14:15], 2
	s_and_b32 vcc_lo, exec_lo, s0
	s_cbranch_vccnz .LBB0_8
; %bb.1:
	s_load_dwordx2 s[0:1], s[4:5], 0x10
	v_mov_b32_e32 v4, 0
	v_mov_b32_e32 v5, 0
	s_add_u32 s2, s18, 8
	v_mov_b32_e32 v6, v20
	s_addc_u32 s3, s19, 0
	v_mov_b32_e32 v7, v21
	v_mov_b32_e32 v85, v5
	s_add_u32 s6, s16, 8
	v_mov_b32_e32 v84, v4
	s_addc_u32 s7, s17, 0
	s_mov_b64 s[22:23], 1
	s_waitcnt lgkmcnt(0)
	s_add_u32 s20, s0, 8
	s_addc_u32 s21, s1, 0
.LBB0_2:                                ; =>This Inner Loop Header: Depth=1
	s_load_dwordx2 s[24:25], s[20:21], 0x0
                                        ; implicit-def: $vgpr87_vgpr88
	s_mov_b32 s0, exec_lo
	s_waitcnt lgkmcnt(0)
	v_or_b32_e32 v2, s25, v7
	v_cmpx_ne_u64_e32 0, v[1:2]
	s_xor_b32 s1, exec_lo, s0
	s_cbranch_execz .LBB0_4
; %bb.3:                                ;   in Loop: Header=BB0_2 Depth=1
	v_cvt_f32_u32_e32 v2, s24
	v_cvt_f32_u32_e32 v3, s25
	s_sub_u32 s0, 0, s24
	s_subb_u32 s26, 0, s25
	v_fmac_f32_e32 v2, 0x4f800000, v3
	v_rcp_f32_e32 v2, v2
	v_mul_f32_e32 v2, 0x5f7ffffc, v2
	v_mul_f32_e32 v3, 0x2f800000, v2
	v_trunc_f32_e32 v3, v3
	v_fmac_f32_e32 v2, 0xcf800000, v3
	v_cvt_u32_f32_e32 v3, v3
	v_cvt_u32_f32_e32 v2, v2
	v_mul_lo_u32 v8, s0, v3
	v_mul_hi_u32 v9, s0, v2
	v_mul_lo_u32 v10, s26, v2
	v_add_nc_u32_e32 v8, v9, v8
	v_mul_lo_u32 v9, s0, v2
	v_add_nc_u32_e32 v8, v8, v10
	v_mul_hi_u32 v10, v2, v9
	v_mul_lo_u32 v11, v2, v8
	v_mul_hi_u32 v12, v2, v8
	v_mul_hi_u32 v13, v3, v9
	v_mul_lo_u32 v9, v3, v9
	v_mul_hi_u32 v14, v3, v8
	v_mul_lo_u32 v8, v3, v8
	v_add_co_u32 v10, vcc_lo, v10, v11
	v_add_co_ci_u32_e32 v11, vcc_lo, 0, v12, vcc_lo
	v_add_co_u32 v9, vcc_lo, v10, v9
	v_add_co_ci_u32_e32 v9, vcc_lo, v11, v13, vcc_lo
	v_add_co_ci_u32_e32 v10, vcc_lo, 0, v14, vcc_lo
	v_add_co_u32 v8, vcc_lo, v9, v8
	v_add_co_ci_u32_e32 v9, vcc_lo, 0, v10, vcc_lo
	v_add_co_u32 v2, vcc_lo, v2, v8
	v_add_co_ci_u32_e32 v3, vcc_lo, v3, v9, vcc_lo
	v_mul_hi_u32 v8, s0, v2
	v_mul_lo_u32 v10, s26, v2
	v_mul_lo_u32 v9, s0, v3
	v_add_nc_u32_e32 v8, v8, v9
	v_mul_lo_u32 v9, s0, v2
	v_add_nc_u32_e32 v8, v8, v10
	v_mul_hi_u32 v10, v2, v9
	v_mul_lo_u32 v11, v2, v8
	v_mul_hi_u32 v12, v2, v8
	v_mul_hi_u32 v13, v3, v9
	v_mul_lo_u32 v9, v3, v9
	v_mul_hi_u32 v14, v3, v8
	v_mul_lo_u32 v8, v3, v8
	v_add_co_u32 v10, vcc_lo, v10, v11
	v_add_co_ci_u32_e32 v11, vcc_lo, 0, v12, vcc_lo
	v_add_co_u32 v9, vcc_lo, v10, v9
	v_add_co_ci_u32_e32 v9, vcc_lo, v11, v13, vcc_lo
	v_add_co_ci_u32_e32 v10, vcc_lo, 0, v14, vcc_lo
	v_add_co_u32 v8, vcc_lo, v9, v8
	v_add_co_ci_u32_e32 v9, vcc_lo, 0, v10, vcc_lo
	v_add_co_u32 v8, vcc_lo, v2, v8
	v_add_co_ci_u32_e32 v10, vcc_lo, v3, v9, vcc_lo
	v_mul_hi_u32 v12, v6, v8
	v_mad_u64_u32 v[8:9], null, v7, v8, 0
	v_mad_u64_u32 v[2:3], null, v6, v10, 0
	;; [unrolled: 1-line block ×3, first 2 shown]
	v_add_co_u32 v2, vcc_lo, v12, v2
	v_add_co_ci_u32_e32 v3, vcc_lo, 0, v3, vcc_lo
	v_add_co_u32 v2, vcc_lo, v2, v8
	v_add_co_ci_u32_e32 v2, vcc_lo, v3, v9, vcc_lo
	v_add_co_ci_u32_e32 v3, vcc_lo, 0, v11, vcc_lo
	v_add_co_u32 v8, vcc_lo, v2, v10
	v_add_co_ci_u32_e32 v9, vcc_lo, 0, v3, vcc_lo
	v_mul_lo_u32 v10, s25, v8
	v_mad_u64_u32 v[2:3], null, s24, v8, 0
	v_mul_lo_u32 v11, s24, v9
	v_sub_co_u32 v2, vcc_lo, v6, v2
	v_add3_u32 v3, v3, v11, v10
	v_sub_nc_u32_e32 v10, v7, v3
	v_subrev_co_ci_u32_e64 v10, s0, s25, v10, vcc_lo
	v_add_co_u32 v11, s0, v8, 2
	v_add_co_ci_u32_e64 v12, s0, 0, v9, s0
	v_sub_co_u32 v13, s0, v2, s24
	v_sub_co_ci_u32_e32 v3, vcc_lo, v7, v3, vcc_lo
	v_subrev_co_ci_u32_e64 v10, s0, 0, v10, s0
	v_cmp_le_u32_e32 vcc_lo, s24, v13
	v_cmp_eq_u32_e64 s0, s25, v3
	v_cndmask_b32_e64 v13, 0, -1, vcc_lo
	v_cmp_le_u32_e32 vcc_lo, s25, v10
	v_cndmask_b32_e64 v14, 0, -1, vcc_lo
	v_cmp_le_u32_e32 vcc_lo, s24, v2
	;; [unrolled: 2-line block ×3, first 2 shown]
	v_cndmask_b32_e64 v15, 0, -1, vcc_lo
	v_cmp_eq_u32_e32 vcc_lo, s25, v10
	v_cndmask_b32_e64 v2, v15, v2, s0
	v_cndmask_b32_e32 v10, v14, v13, vcc_lo
	v_add_co_u32 v13, vcc_lo, v8, 1
	v_add_co_ci_u32_e32 v14, vcc_lo, 0, v9, vcc_lo
	v_cmp_ne_u32_e32 vcc_lo, 0, v10
	v_cndmask_b32_e32 v3, v14, v12, vcc_lo
	v_cndmask_b32_e32 v10, v13, v11, vcc_lo
	v_cmp_ne_u32_e32 vcc_lo, 0, v2
	v_cndmask_b32_e32 v88, v9, v3, vcc_lo
	v_cndmask_b32_e32 v87, v8, v10, vcc_lo
.LBB0_4:                                ;   in Loop: Header=BB0_2 Depth=1
	s_andn2_saveexec_b32 s0, s1
	s_cbranch_execz .LBB0_6
; %bb.5:                                ;   in Loop: Header=BB0_2 Depth=1
	v_cvt_f32_u32_e32 v2, s24
	s_sub_i32 s1, 0, s24
	v_mov_b32_e32 v88, v1
	v_rcp_iflag_f32_e32 v2, v2
	v_mul_f32_e32 v2, 0x4f7ffffe, v2
	v_cvt_u32_f32_e32 v2, v2
	v_mul_lo_u32 v3, s1, v2
	v_mul_hi_u32 v3, v2, v3
	v_add_nc_u32_e32 v2, v2, v3
	v_mul_hi_u32 v2, v6, v2
	v_mul_lo_u32 v3, v2, s24
	v_add_nc_u32_e32 v8, 1, v2
	v_sub_nc_u32_e32 v3, v6, v3
	v_subrev_nc_u32_e32 v9, s24, v3
	v_cmp_le_u32_e32 vcc_lo, s24, v3
	v_cndmask_b32_e32 v3, v3, v9, vcc_lo
	v_cndmask_b32_e32 v2, v2, v8, vcc_lo
	v_cmp_le_u32_e32 vcc_lo, s24, v3
	v_add_nc_u32_e32 v8, 1, v2
	v_cndmask_b32_e32 v87, v2, v8, vcc_lo
.LBB0_6:                                ;   in Loop: Header=BB0_2 Depth=1
	s_or_b32 exec_lo, exec_lo, s0
	v_mul_lo_u32 v8, v88, s24
	v_mul_lo_u32 v9, v87, s25
	s_load_dwordx2 s[0:1], s[6:7], 0x0
	v_mad_u64_u32 v[2:3], null, v87, s24, 0
	s_load_dwordx2 s[24:25], s[2:3], 0x0
	s_add_u32 s22, s22, 1
	s_addc_u32 s23, s23, 0
	s_add_u32 s2, s2, 8
	s_addc_u32 s3, s3, 0
	s_add_u32 s6, s6, 8
	v_add3_u32 v3, v3, v9, v8
	v_sub_co_u32 v2, vcc_lo, v6, v2
	s_addc_u32 s7, s7, 0
	s_add_u32 s20, s20, 8
	v_sub_co_ci_u32_e32 v3, vcc_lo, v7, v3, vcc_lo
	s_addc_u32 s21, s21, 0
	s_waitcnt lgkmcnt(0)
	v_mul_lo_u32 v6, s0, v3
	v_mul_lo_u32 v7, s1, v2
	v_mad_u64_u32 v[4:5], null, s0, v2, v[4:5]
	v_mul_lo_u32 v3, s24, v3
	v_mul_lo_u32 v8, s25, v2
	v_mad_u64_u32 v[84:85], null, s24, v2, v[84:85]
	v_cmp_ge_u64_e64 s0, s[22:23], s[14:15]
	v_add3_u32 v5, v7, v5, v6
	v_add3_u32 v85, v8, v85, v3
	s_and_b32 vcc_lo, exec_lo, s0
	s_cbranch_vccnz .LBB0_8
; %bb.7:                                ;   in Loop: Header=BB0_2 Depth=1
	v_mov_b32_e32 v6, v87
	v_mov_b32_e32 v7, v88
	s_branch .LBB0_2
.LBB0_8:
	s_load_dwordx2 s[0:1], s[4:5], 0x28
	v_mul_hi_u32 v1, 0x1745d175, v0
	s_lshl_b64 s[4:5], s[14:15], 3
                                        ; implicit-def: $vgpr86
	s_add_u32 s2, s18, s4
	s_addc_u32 s3, s19, s5
	s_waitcnt lgkmcnt(0)
	v_cmp_gt_u64_e32 vcc_lo, s[0:1], v[87:88]
	v_cmp_le_u64_e64 s0, s[0:1], v[87:88]
	s_and_saveexec_b32 s1, s0
	s_xor_b32 s0, exec_lo, s1
; %bb.9:
	v_mul_u32_u24_e32 v1, 11, v1
                                        ; implicit-def: $vgpr4_vgpr5
	v_sub_nc_u32_e32 v86, v0, v1
                                        ; implicit-def: $vgpr1
                                        ; implicit-def: $vgpr0
; %bb.10:
	s_or_saveexec_b32 s1, s0
                                        ; implicit-def: $vgpr2_vgpr3
                                        ; implicit-def: $vgpr6_vgpr7
                                        ; implicit-def: $vgpr18_vgpr19
                                        ; implicit-def: $vgpr10_vgpr11
                                        ; implicit-def: $vgpr14_vgpr15
	s_xor_b32 exec_lo, exec_lo, s1
	s_cbranch_execz .LBB0_12
; %bb.11:
	s_add_u32 s4, s16, s4
	s_addc_u32 s5, s17, s5
	s_load_dwordx2 s[4:5], s[4:5], 0x0
	s_waitcnt lgkmcnt(0)
	v_mul_lo_u32 v6, s5, v87
	v_mul_lo_u32 v7, s4, v88
	v_mad_u64_u32 v[2:3], null, s4, v87, 0
	v_add3_u32 v3, v3, v7, v6
	v_mul_u32_u24_e32 v6, 11, v1
	v_lshlrev_b64 v[1:2], 4, v[2:3]
	v_lshlrev_b64 v[3:4], 4, v[4:5]
	v_sub_nc_u32_e32 v86, v0, v6
	v_add_co_u32 v0, s0, s8, v1
	v_add_co_ci_u32_e64 v1, s0, s9, v2, s0
	v_lshlrev_b32_e32 v2, 4, v86
	v_add_co_u32 v0, s0, v0, v3
	v_add_co_ci_u32_e64 v1, s0, v1, v4, s0
	v_add_co_u32 v0, s0, v0, v2
	v_add_co_ci_u32_e64 v1, s0, 0, v1, s0
	s_clause 0x4
	global_load_dwordx4 v[12:15], v[0:1], off
	global_load_dwordx4 v[8:11], v[0:1], off offset:176
	global_load_dwordx4 v[16:19], v[0:1], off offset:352
	;; [unrolled: 1-line block ×4, first 2 shown]
.LBB0_12:
	s_or_b32 exec_lo, exec_lo, s1
	s_waitcnt vmcnt(1)
	v_add_f64 v[21:22], v[4:5], v[16:17]
	s_waitcnt vmcnt(0)
	v_add_f64 v[23:24], v[0:1], v[8:9]
	v_add_f64 v[25:26], v[6:7], v[18:19]
	v_add_f64 v[27:28], v[2:3], v[10:11]
	v_add_f64 v[29:30], v[8:9], v[12:13]
	v_add_f64 v[31:32], v[10:11], -v[2:3]
	v_add_f64 v[33:34], v[18:19], -v[6:7]
	v_add_f64 v[35:36], v[10:11], v[14:15]
	v_add_f64 v[37:38], v[8:9], -v[0:1]
	s_mov_b32 s0, 0x134454ff
	s_mov_b32 s1, 0x3fee6f0e
	;; [unrolled: 1-line block ×4, first 2 shown]
	v_add_f64 v[39:40], v[0:1], -v[4:5]
	v_add_f64 v[41:42], v[4:5], -v[0:1]
	;; [unrolled: 1-line block ×6, first 2 shown]
	v_mul_hi_u32 v53, 0xb21642c9, v20
	s_load_dwordx2 s[2:3], s[2:3], 0x0
	v_fma_f64 v[21:22], v[21:22], -0.5, v[12:13]
	v_fma_f64 v[12:13], v[23:24], -0.5, v[12:13]
	v_add_f64 v[23:24], v[16:17], -v[4:5]
	v_fma_f64 v[25:26], v[25:26], -0.5, v[14:15]
	v_fma_f64 v[14:15], v[27:28], -0.5, v[14:15]
	v_add_f64 v[27:28], v[8:9], -v[16:17]
	v_add_f64 v[8:9], v[16:17], -v[8:9]
	v_add_f64 v[16:17], v[16:17], v[29:30]
	v_add_f64 v[18:19], v[18:19], v[35:36]
	v_fma_f64 v[29:30], v[31:32], s[0:1], v[21:22]
	v_fma_f64 v[21:22], v[31:32], s[4:5], v[21:22]
	;; [unrolled: 1-line block ×8, first 2 shown]
	s_mov_b32 s0, 0x4755a5e
	s_mov_b32 s1, 0x3fe2cf23
	;; [unrolled: 1-line block ×4, first 2 shown]
	v_add_f64 v[27:28], v[39:40], v[27:28]
	v_add_f64 v[39:40], v[41:42], v[8:9]
	;; [unrolled: 1-line block ×6, first 2 shown]
	v_lshrrev_b32_e32 v16, 4, v53
	v_fma_f64 v[8:9], v[33:34], s[0:1], v[29:30]
	v_fma_f64 v[10:11], v[33:34], s[4:5], v[21:22]
	;; [unrolled: 1-line block ×8, first 2 shown]
	s_mov_b32 s0, 0x372fe950
	s_mov_b32 s1, 0x3fd3c6ef
	v_mul_lo_u32 v25, v16, 23
                                        ; implicit-def: $vgpr34_vgpr35
	v_add_f64 v[0:1], v[0:1], v[4:5]
	v_add_f64 v[2:3], v[2:3], v[6:7]
	v_fma_f64 v[4:5], v[27:28], s[0:1], v[8:9]
	v_fma_f64 v[16:17], v[27:28], s[0:1], v[10:11]
	;; [unrolled: 1-line block ×8, first 2 shown]
	v_sub_nc_u32_e32 v21, v20, v25
	v_mad_u32_u24 v20, 0x50, v86, 0
	s_mov_b32 s1, exec_lo
                                        ; implicit-def: $vgpr42_vgpr43
                                        ; implicit-def: $vgpr38_vgpr39
                                        ; implicit-def: $vgpr30_vgpr31
                                        ; implicit-def: $vgpr26_vgpr27
	v_mul_u32_u24_e32 v21, 55, v21
	v_lshl_add_u32 v22, v21, 4, v20
	ds_write_b128 v22, v[0:3]
	ds_write_b128 v22, v[4:7] offset:16
	ds_write_b128 v22, v[8:11] offset:32
	;; [unrolled: 1-line block ×4, first 2 shown]
	s_waitcnt lgkmcnt(0)
	s_barrier
	buffer_gl0_inv
                                        ; implicit-def: $vgpr22_vgpr23
	v_cmpx_gt_u32_e32 5, v86
	s_cbranch_execz .LBB0_14
; %bb.13:
	v_lshlrev_b32_e32 v0, 6, v86
	v_lshlrev_b32_e32 v1, 4, v21
	;; [unrolled: 1-line block ×3, first 2 shown]
	v_sub_nc_u32_e32 v0, v20, v0
	v_add3_u32 v2, 0, v1, v2
	v_add_nc_u32_e32 v40, v0, v1
	ds_read_b128 v[0:3], v2
	ds_read_b128 v[4:7], v40 offset:80
	ds_read_b128 v[8:11], v40 offset:160
	;; [unrolled: 1-line block ×10, first 2 shown]
.LBB0_14:
	s_or_b32 exec_lo, exec_lo, s1
	v_cmp_gt_u32_e64 s0, 5, v86
	s_and_b32 s0, vcc_lo, s0
	s_and_saveexec_b32 s1, s0
	s_cbranch_execz .LBB0_16
; %bb.15:
	v_and_b32_e32 v44, 0xff, v86
	v_mul_lo_u32 v90, s3, v87
	v_mul_lo_u32 v91, s2, v88
	v_mad_u64_u32 v[88:89], null, s2, v87, 0
	v_mul_lo_u16 v44, 0xcd, v44
	s_mov_b32 s0, 0x640f44db
	s_mov_b32 s4, 0x43842ef
	;; [unrolled: 1-line block ×4, first 2 shown]
	v_lshrrev_b16 v44, 10, v44
	v_add3_u32 v89, v89, v91, v90
	s_mov_b32 s6, 0x7f775887
	s_mov_b32 s20, 0x8764f0ba
	;; [unrolled: 1-line block ×3, first 2 shown]
	v_mul_lo_u16 v44, v44, 5
	v_lshlrev_b64 v[88:89], 4, v[88:89]
	s_mov_b32 s14, 0x9bcd5057
	s_mov_b32 s18, 0xfd768dbf
	;; [unrolled: 1-line block ×3, first 2 shown]
	v_sub_nc_u16 v44, v86, v44
	s_mov_b32 s5, 0x3fefac9e
	s_mov_b32 s9, 0x3fda9628
	s_mov_b32 s17, 0xbfed1bb4
	s_mov_b32 s7, 0xbfe4f49e
	v_mul_lo_u16 v44, v44, 10
	s_mov_b32 s21, 0x3feaeb8c
	s_mov_b32 s23, 0xbfe14ced
	;; [unrolled: 1-line block ×4, first 2 shown]
	v_and_b32_e32 v44, 0xfe, v44
	s_mov_b32 s25, 0xbfefac9e
	s_mov_b32 s29, 0xbfe82f19
	;; [unrolled: 1-line block ×4, first 2 shown]
	v_lshlrev_b32_e32 v48, 4, v44
	s_mov_b32 s30, s18
	v_add_co_u32 v250, vcc_lo, s10, v88
	v_add_co_ci_u32_e32 v251, vcc_lo, s11, v89, vcc_lo
	s_clause 0x9
	global_load_dwordx4 v[44:47], v48, s[12:13]
	global_load_dwordx4 v[80:83], v48, s[12:13] offset:144
	global_load_dwordx4 v[76:79], v48, s[12:13] offset:64
	;; [unrolled: 1-line block ×9, first 2 shown]
	s_mov_b32 s12, 0xbb3a28a1
	s_mov_b32 s13, 0x3fe82f19
	;; [unrolled: 1-line block ×7, first 2 shown]
	v_mov_b32_e32 v87, 0
	v_lshlrev_b64 v[84:85], 4, v[84:85]
	v_lshlrev_b64 v[86:87], 4, v[86:87]
	s_waitcnt vmcnt(9) lgkmcnt(9)
	v_mul_f64 v[90:91], v[6:7], v[44:45]
	v_mul_f64 v[6:7], v[6:7], v[46:47]
	s_waitcnt vmcnt(8) lgkmcnt(0)
	v_mul_f64 v[92:93], v[42:43], v[80:81]
	v_mul_f64 v[42:43], v[42:43], v[82:83]
	s_waitcnt vmcnt(7)
	v_mul_f64 v[94:95], v[26:27], v[76:77]
	v_mul_f64 v[26:27], v[26:27], v[78:79]
	s_waitcnt vmcnt(6)
	;; [unrolled: 3-line block ×6, first 2 shown]
	v_mul_f64 v[104:105], v[22:23], v[52:53]
	s_waitcnt vmcnt(1)
	v_mul_f64 v[106:107], v[18:19], v[56:57]
	s_waitcnt vmcnt(0)
	v_mul_f64 v[108:109], v[30:31], v[48:49]
	v_mul_f64 v[22:23], v[22:23], v[54:55]
	;; [unrolled: 1-line block ×4, first 2 shown]
	v_fma_f64 v[46:47], v[4:5], v[46:47], v[90:91]
	v_fma_f64 v[4:5], v[4:5], v[44:45], -v[6:7]
	v_fma_f64 v[44:45], v[40:41], v[82:83], v[92:93]
	v_fma_f64 v[40:41], v[40:41], v[80:81], -v[42:43]
	;; [unrolled: 2-line block ×7, first 2 shown]
	v_fma_f64 v[34:35], v[20:21], v[54:55], v[104:105]
	v_fma_f64 v[42:43], v[16:17], v[58:59], v[106:107]
	;; [unrolled: 1-line block ×3, first 2 shown]
	v_fma_f64 v[20:21], v[20:21], v[52:53], -v[22:23]
	v_fma_f64 v[16:17], v[16:17], v[56:57], -v[18:19]
	;; [unrolled: 1-line block ×3, first 2 shown]
	v_add_f64 v[22:23], v[46:47], v[44:45]
	v_add_f64 v[28:29], v[4:5], -v[40:41]
	v_add_f64 v[30:31], v[46:47], -v[44:45]
	v_add_f64 v[48:49], v[4:5], v[40:41]
	v_add_f64 v[46:47], v[2:3], v[46:47]
	;; [unrolled: 1-line block ×4, first 2 shown]
	v_add_f64 v[56:57], v[26:27], -v[10:11]
	v_add_f64 v[54:55], v[8:9], -v[36:37]
	v_add_f64 v[58:59], v[8:9], v[36:37]
	v_add_f64 v[60:61], v[38:39], v[14:15]
	v_add_f64 v[64:65], v[38:39], -v[14:15]
	v_add_f64 v[72:73], v[6:7], v[34:35]
	v_add_f64 v[74:75], v[6:7], -v[34:35]
	;; [unrolled: 2-line block ×3, first 2 shown]
	v_add_f64 v[62:63], v[12:13], -v[32:33]
	v_add_f64 v[66:67], v[12:13], v[32:33]
	v_add_f64 v[76:77], v[16:17], -v[18:19]
	v_add_f64 v[78:79], v[16:17], v[18:19]
	;; [unrolled: 2-line block ×3, first 2 shown]
	v_mul_f64 v[88:89], v[22:23], s[14:15]
	v_mul_f64 v[90:91], v[22:23], s[6:7]
	;; [unrolled: 1-line block ×4, first 2 shown]
	v_add_f64 v[26:27], v[26:27], v[46:47]
	v_add_f64 v[4:5], v[8:9], v[4:5]
	v_mul_f64 v[22:23], v[22:23], s[20:21]
	v_mul_f64 v[96:97], v[30:31], s[30:31]
	;; [unrolled: 1-line block ×20, first 2 shown]
	v_add_f64 v[26:27], v[38:39], v[26:27]
	v_add_f64 v[4:5], v[12:13], v[4:5]
	v_mul_f64 v[132:133], v[72:73], s[8:9]
	v_mul_f64 v[134:135], v[74:75], s[26:27]
	;; [unrolled: 1-line block ×20, first 2 shown]
	v_add_f64 v[26:27], v[42:43], v[26:27]
	v_add_f64 v[4:5], v[16:17], v[4:5]
	v_mul_f64 v[60:61], v[60:61], s[0:1]
	v_mul_f64 v[64:65], v[64:65], s[24:25]
	;; [unrolled: 1-line block ×6, first 2 shown]
	v_fma_f64 v[8:9], v[28:29], s[18:19], v[88:89]
	v_fma_f64 v[46:47], v[28:29], s[30:31], v[88:89]
	v_fma_f64 v[88:89], v[28:29], s[12:13], v[90:91]
	v_fma_f64 v[90:91], v[28:29], s[28:29], v[90:91]
	v_fma_f64 v[168:169], v[28:29], s[4:5], v[92:93]
	v_fma_f64 v[92:93], v[28:29], s[24:25], v[92:93]
	v_fma_f64 v[170:171], v[28:29], s[26:27], v[94:95]
	v_fma_f64 v[94:95], v[28:29], s[16:17], v[94:95]
	v_fma_f64 v[172:173], v[28:29], s[34:35], v[22:23]
	v_fma_f64 v[22:23], v[28:29], s[22:23], v[22:23]
	v_fma_f64 v[28:29], v[48:49], s[14:15], v[96:97]
	v_fma_f64 v[96:97], v[48:49], s[14:15], -v[96:97]
	v_fma_f64 v[174:175], v[48:49], s[6:7], v[98:99]
	v_fma_f64 v[98:99], v[48:49], s[6:7], -v[98:99]
	v_fma_f64 v[176:177], v[48:49], s[0:1], v[100:101]
	v_fma_f64 v[180:181], v[48:49], s[20:21], v[30:31]
	v_fma_f64 v[30:31], v[48:49], s[20:21], -v[30:31]
	v_fma_f64 v[178:179], v[48:49], s[8:9], v[102:103]
	v_fma_f64 v[102:103], v[48:49], s[8:9], -v[102:103]
	v_fma_f64 v[100:101], v[48:49], s[0:1], -v[100:101]
	v_add_f64 v[6:7], v[6:7], v[26:27]
	v_add_f64 v[4:5], v[24:25], v[4:5]
	v_fma_f64 v[48:49], v[54:55], s[22:23], v[104:105]
	v_fma_f64 v[182:183], v[58:59], s[20:21], v[106:107]
	;; [unrolled: 1-line block ×7, first 2 shown]
	v_fma_f64 v[106:107], v[58:59], s[20:21], -v[106:107]
	v_fma_f64 v[108:109], v[62:63], s[28:29], v[108:109]
	v_fma_f64 v[110:111], v[66:67], s[6:7], -v[110:111]
	v_fma_f64 v[114:115], v[78:79], s[8:9], -v[114:115]
	;; [unrolled: 1-line block ×3, first 2 shown]
	v_fma_f64 v[196:197], v[54:55], s[24:25], v[120:121]
	v_fma_f64 v[198:199], v[58:59], s[0:1], v[122:123]
	;; [unrolled: 1-line block ×7, first 2 shown]
	v_fma_f64 v[122:123], v[58:59], s[0:1], -v[122:123]
	v_fma_f64 v[124:125], v[62:63], s[22:23], v[124:125]
	v_fma_f64 v[126:127], v[66:67], s[20:21], -v[126:127]
	v_fma_f64 v[130:131], v[78:79], s[14:15], -v[130:131]
	v_fma_f64 v[134:135], v[82:83], s[8:9], -v[134:135]
	v_fma_f64 v[212:213], v[54:55], s[30:31], v[136:137]
	v_fma_f64 v[214:215], v[58:59], s[14:15], v[138:139]
	;; [unrolled: 1-line block ×9, first 2 shown]
	v_fma_f64 v[38:39], v[58:59], s[14:15], -v[138:139]
	v_fma_f64 v[136:137], v[62:63], s[26:27], v[140:141]
	v_fma_f64 v[138:139], v[66:67], s[8:9], -v[142:143]
	v_fma_f64 v[140:141], v[76:77], s[22:23], v[144:145]
	;; [unrolled: 2-line block ×4, first 2 shown]
	v_fma_f64 v[150:151], v[58:59], s[6:7], v[154:155]
	v_fma_f64 v[228:229], v[62:63], s[30:31], v[156:157]
	;; [unrolled: 1-line block ×8, first 2 shown]
	v_fma_f64 v[154:155], v[58:59], s[6:7], -v[154:155]
	v_fma_f64 v[156:157], v[62:63], s[18:19], v[156:157]
	v_fma_f64 v[158:159], v[66:67], s[14:15], -v[158:159]
	v_fma_f64 v[16:17], v[76:77], s[4:5], v[160:161]
	;; [unrolled: 2-line block ×7, first 2 shown]
	v_fma_f64 v[52:53], v[54:55], s[26:27], v[52:53]
	v_fma_f64 v[54:55], v[82:83], s[14:15], -v[74:75]
	v_fma_f64 v[56:57], v[58:59], s[8:9], v[56:57]
	v_fma_f64 v[58:59], v[62:63], s[4:5], v[60:61]
	;; [unrolled: 1-line block ×7, first 2 shown]
	v_add_f64 v[8:9], v[2:3], v[8:9]
	v_add_f64 v[24:25], v[0:1], v[28:29]
	;; [unrolled: 1-line block ×12, first 2 shown]
	v_fma_f64 v[188:189], v[76:77], s[16:17], v[112:113]
	v_fma_f64 v[112:113], v[76:77], s[26:27], v[112:113]
	;; [unrolled: 1-line block ×4, first 2 shown]
	v_add_f64 v[76:77], v[2:3], v[168:169]
	v_add_f64 v[88:89], v[0:1], v[102:103]
	v_fma_f64 v[192:193], v[80:81], s[4:5], v[116:117]
	v_fma_f64 v[116:117], v[80:81], s[24:25], v[116:117]
	;; [unrolled: 1-line block ×4, first 2 shown]
	v_add_f64 v[80:81], v[2:3], v[92:93]
	v_add_f64 v[90:91], v[0:1], v[100:101]
	;; [unrolled: 1-line block ×96, first 2 shown]
	v_add_co_u32 v44, vcc_lo, v250, v84
	v_add_co_ci_u32_e32 v45, vcc_lo, v251, v85, vcc_lo
	v_add_co_u32 v44, vcc_lo, v44, v86
	v_add_co_ci_u32_e32 v45, vcc_lo, v45, v87, vcc_lo
	global_store_dwordx4 v[44:45], v[28:31], off offset:80
	global_store_dwordx4 v[44:45], v[24:27], off offset:160
	;; [unrolled: 1-line block ×9, first 2 shown]
	global_store_dwordx4 v[44:45], v[40:43], off
	global_store_dwordx4 v[44:45], v[36:39], off offset:800
.LBB0_16:
	s_endpgm
	.section	.rodata,"a",@progbits
	.p2align	6, 0x0
	.amdhsa_kernel fft_rtc_fwd_len55_factors_5_11_wgs_253_tpt_11_dp_op_CI_CI_unitstride_sbrr_dirReg
		.amdhsa_group_segment_fixed_size 0
		.amdhsa_private_segment_fixed_size 0
		.amdhsa_kernarg_size 104
		.amdhsa_user_sgpr_count 6
		.amdhsa_user_sgpr_private_segment_buffer 1
		.amdhsa_user_sgpr_dispatch_ptr 0
		.amdhsa_user_sgpr_queue_ptr 0
		.amdhsa_user_sgpr_kernarg_segment_ptr 1
		.amdhsa_user_sgpr_dispatch_id 0
		.amdhsa_user_sgpr_flat_scratch_init 0
		.amdhsa_user_sgpr_private_segment_size 0
		.amdhsa_wavefront_size32 1
		.amdhsa_uses_dynamic_stack 0
		.amdhsa_system_sgpr_private_segment_wavefront_offset 0
		.amdhsa_system_sgpr_workgroup_id_x 1
		.amdhsa_system_sgpr_workgroup_id_y 0
		.amdhsa_system_sgpr_workgroup_id_z 0
		.amdhsa_system_sgpr_workgroup_info 0
		.amdhsa_system_vgpr_workitem_id 0
		.amdhsa_next_free_vgpr 252
		.amdhsa_next_free_sgpr 36
		.amdhsa_reserve_vcc 1
		.amdhsa_reserve_flat_scratch 0
		.amdhsa_float_round_mode_32 0
		.amdhsa_float_round_mode_16_64 0
		.amdhsa_float_denorm_mode_32 3
		.amdhsa_float_denorm_mode_16_64 3
		.amdhsa_dx10_clamp 1
		.amdhsa_ieee_mode 1
		.amdhsa_fp16_overflow 0
		.amdhsa_workgroup_processor_mode 1
		.amdhsa_memory_ordered 1
		.amdhsa_forward_progress 0
		.amdhsa_shared_vgpr_count 0
		.amdhsa_exception_fp_ieee_invalid_op 0
		.amdhsa_exception_fp_denorm_src 0
		.amdhsa_exception_fp_ieee_div_zero 0
		.amdhsa_exception_fp_ieee_overflow 0
		.amdhsa_exception_fp_ieee_underflow 0
		.amdhsa_exception_fp_ieee_inexact 0
		.amdhsa_exception_int_div_zero 0
	.end_amdhsa_kernel
	.text
.Lfunc_end0:
	.size	fft_rtc_fwd_len55_factors_5_11_wgs_253_tpt_11_dp_op_CI_CI_unitstride_sbrr_dirReg, .Lfunc_end0-fft_rtc_fwd_len55_factors_5_11_wgs_253_tpt_11_dp_op_CI_CI_unitstride_sbrr_dirReg
                                        ; -- End function
	.section	.AMDGPU.csdata,"",@progbits
; Kernel info:
; codeLenInByte = 5408
; NumSgprs: 38
; NumVgprs: 252
; ScratchSize: 0
; MemoryBound: 1
; FloatMode: 240
; IeeeMode: 1
; LDSByteSize: 0 bytes/workgroup (compile time only)
; SGPRBlocks: 4
; VGPRBlocks: 31
; NumSGPRsForWavesPerEU: 38
; NumVGPRsForWavesPerEU: 252
; Occupancy: 4
; WaveLimiterHint : 1
; COMPUTE_PGM_RSRC2:SCRATCH_EN: 0
; COMPUTE_PGM_RSRC2:USER_SGPR: 6
; COMPUTE_PGM_RSRC2:TRAP_HANDLER: 0
; COMPUTE_PGM_RSRC2:TGID_X_EN: 1
; COMPUTE_PGM_RSRC2:TGID_Y_EN: 0
; COMPUTE_PGM_RSRC2:TGID_Z_EN: 0
; COMPUTE_PGM_RSRC2:TIDIG_COMP_CNT: 0
	.text
	.p2alignl 6, 3214868480
	.fill 48, 4, 3214868480
	.type	__hip_cuid_fd889afb2dcc9697,@object ; @__hip_cuid_fd889afb2dcc9697
	.section	.bss,"aw",@nobits
	.globl	__hip_cuid_fd889afb2dcc9697
__hip_cuid_fd889afb2dcc9697:
	.byte	0                               ; 0x0
	.size	__hip_cuid_fd889afb2dcc9697, 1

	.ident	"AMD clang version 19.0.0git (https://github.com/RadeonOpenCompute/llvm-project roc-6.4.0 25133 c7fe45cf4b819c5991fe208aaa96edf142730f1d)"
	.section	".note.GNU-stack","",@progbits
	.addrsig
	.addrsig_sym __hip_cuid_fd889afb2dcc9697
	.amdgpu_metadata
---
amdhsa.kernels:
  - .args:
      - .actual_access:  read_only
        .address_space:  global
        .offset:         0
        .size:           8
        .value_kind:     global_buffer
      - .offset:         8
        .size:           8
        .value_kind:     by_value
      - .actual_access:  read_only
        .address_space:  global
        .offset:         16
        .size:           8
        .value_kind:     global_buffer
      - .actual_access:  read_only
        .address_space:  global
        .offset:         24
        .size:           8
        .value_kind:     global_buffer
      - .actual_access:  read_only
        .address_space:  global
        .offset:         32
        .size:           8
        .value_kind:     global_buffer
      - .offset:         40
        .size:           8
        .value_kind:     by_value
      - .actual_access:  read_only
        .address_space:  global
        .offset:         48
        .size:           8
        .value_kind:     global_buffer
      - .actual_access:  read_only
        .address_space:  global
        .offset:         56
        .size:           8
        .value_kind:     global_buffer
      - .offset:         64
        .size:           4
        .value_kind:     by_value
      - .actual_access:  read_only
        .address_space:  global
        .offset:         72
        .size:           8
        .value_kind:     global_buffer
      - .actual_access:  read_only
        .address_space:  global
        .offset:         80
        .size:           8
        .value_kind:     global_buffer
      - .actual_access:  read_only
        .address_space:  global
        .offset:         88
        .size:           8
        .value_kind:     global_buffer
      - .actual_access:  write_only
        .address_space:  global
        .offset:         96
        .size:           8
        .value_kind:     global_buffer
    .group_segment_fixed_size: 0
    .kernarg_segment_align: 8
    .kernarg_segment_size: 104
    .language:       OpenCL C
    .language_version:
      - 2
      - 0
    .max_flat_workgroup_size: 253
    .name:           fft_rtc_fwd_len55_factors_5_11_wgs_253_tpt_11_dp_op_CI_CI_unitstride_sbrr_dirReg
    .private_segment_fixed_size: 0
    .sgpr_count:     38
    .sgpr_spill_count: 0
    .symbol:         fft_rtc_fwd_len55_factors_5_11_wgs_253_tpt_11_dp_op_CI_CI_unitstride_sbrr_dirReg.kd
    .uniform_work_group_size: 1
    .uses_dynamic_stack: false
    .vgpr_count:     252
    .vgpr_spill_count: 0
    .wavefront_size: 32
    .workgroup_processor_mode: 1
amdhsa.target:   amdgcn-amd-amdhsa--gfx1030
amdhsa.version:
  - 1
  - 2
...

	.end_amdgpu_metadata
